;; amdgpu-corpus repo=ROCm/rocFFT kind=compiled arch=gfx1100 opt=O3
	.text
	.amdgcn_target "amdgcn-amd-amdhsa--gfx1100"
	.amdhsa_code_object_version 6
	.protected	fft_rtc_back_len1690_factors_13_10_13_wgs_169_tpt_169_dp_ip_CI_unitstride_sbrr_dirReg ; -- Begin function fft_rtc_back_len1690_factors_13_10_13_wgs_169_tpt_169_dp_ip_CI_unitstride_sbrr_dirReg
	.globl	fft_rtc_back_len1690_factors_13_10_13_wgs_169_tpt_169_dp_ip_CI_unitstride_sbrr_dirReg
	.p2align	8
	.type	fft_rtc_back_len1690_factors_13_10_13_wgs_169_tpt_169_dp_ip_CI_unitstride_sbrr_dirReg,@function
fft_rtc_back_len1690_factors_13_10_13_wgs_169_tpt_169_dp_ip_CI_unitstride_sbrr_dirReg: ; @fft_rtc_back_len1690_factors_13_10_13_wgs_169_tpt_169_dp_ip_CI_unitstride_sbrr_dirReg
; %bb.0:
	s_clause 0x2
	s_load_b128 s[4:7], s[0:1], 0x0
	s_load_b64 s[8:9], s[0:1], 0x50
	s_load_b64 s[10:11], s[0:1], 0x18
	v_mul_u32_u24_e32 v1, 0x184, v0
	v_mov_b32_e32 v3, 0
	v_mov_b32_e32 v4, 0
	s_delay_alu instid0(VALU_DEP_3) | instskip(SKIP_1) | instid1(VALU_DEP_1)
	v_lshrrev_b32_e32 v2, 16, v1
	v_mov_b32_e32 v1, 0
	v_dual_mov_b32 v6, v1 :: v_dual_add_nc_u32 v5, s15, v2
	s_waitcnt lgkmcnt(0)
	v_cmp_lt_u64_e64 s2, s[6:7], 2
	s_delay_alu instid0(VALU_DEP_1)
	s_and_b32 vcc_lo, exec_lo, s2
	s_cbranch_vccnz .LBB0_8
; %bb.1:
	s_load_b64 s[2:3], s[0:1], 0x10
	v_mov_b32_e32 v3, 0
	s_add_u32 s12, s10, 8
	v_mov_b32_e32 v4, 0
	s_addc_u32 s13, s11, 0
	s_mov_b64 s[16:17], 1
	s_waitcnt lgkmcnt(0)
	s_add_u32 s14, s2, 8
	s_addc_u32 s15, s3, 0
.LBB0_2:                                ; =>This Inner Loop Header: Depth=1
	s_load_b64 s[18:19], s[14:15], 0x0
                                        ; implicit-def: $vgpr7_vgpr8
	s_mov_b32 s2, exec_lo
	s_waitcnt lgkmcnt(0)
	v_or_b32_e32 v2, s19, v6
	s_delay_alu instid0(VALU_DEP_1)
	v_cmpx_ne_u64_e32 0, v[1:2]
	s_xor_b32 s3, exec_lo, s2
	s_cbranch_execz .LBB0_4
; %bb.3:                                ;   in Loop: Header=BB0_2 Depth=1
	v_cvt_f32_u32_e32 v2, s18
	v_cvt_f32_u32_e32 v7, s19
	s_sub_u32 s2, 0, s18
	s_subb_u32 s20, 0, s19
	s_delay_alu instid0(VALU_DEP_1) | instskip(NEXT) | instid1(VALU_DEP_1)
	v_fmac_f32_e32 v2, 0x4f800000, v7
	v_rcp_f32_e32 v2, v2
	s_waitcnt_depctr 0xfff
	v_mul_f32_e32 v2, 0x5f7ffffc, v2
	s_delay_alu instid0(VALU_DEP_1) | instskip(NEXT) | instid1(VALU_DEP_1)
	v_mul_f32_e32 v7, 0x2f800000, v2
	v_trunc_f32_e32 v7, v7
	s_delay_alu instid0(VALU_DEP_1) | instskip(SKIP_1) | instid1(VALU_DEP_2)
	v_fmac_f32_e32 v2, 0xcf800000, v7
	v_cvt_u32_f32_e32 v7, v7
	v_cvt_u32_f32_e32 v2, v2
	s_delay_alu instid0(VALU_DEP_2) | instskip(NEXT) | instid1(VALU_DEP_2)
	v_mul_lo_u32 v8, s2, v7
	v_mul_hi_u32 v9, s2, v2
	v_mul_lo_u32 v10, s20, v2
	s_delay_alu instid0(VALU_DEP_2) | instskip(SKIP_1) | instid1(VALU_DEP_2)
	v_add_nc_u32_e32 v8, v9, v8
	v_mul_lo_u32 v9, s2, v2
	v_add_nc_u32_e32 v8, v8, v10
	s_delay_alu instid0(VALU_DEP_2) | instskip(NEXT) | instid1(VALU_DEP_2)
	v_mul_hi_u32 v10, v2, v9
	v_mul_lo_u32 v11, v2, v8
	v_mul_hi_u32 v12, v2, v8
	v_mul_hi_u32 v13, v7, v9
	v_mul_lo_u32 v9, v7, v9
	v_mul_hi_u32 v14, v7, v8
	v_mul_lo_u32 v8, v7, v8
	v_add_co_u32 v10, vcc_lo, v10, v11
	v_add_co_ci_u32_e32 v11, vcc_lo, 0, v12, vcc_lo
	s_delay_alu instid0(VALU_DEP_2) | instskip(NEXT) | instid1(VALU_DEP_2)
	v_add_co_u32 v9, vcc_lo, v10, v9
	v_add_co_ci_u32_e32 v9, vcc_lo, v11, v13, vcc_lo
	v_add_co_ci_u32_e32 v10, vcc_lo, 0, v14, vcc_lo
	s_delay_alu instid0(VALU_DEP_2) | instskip(NEXT) | instid1(VALU_DEP_2)
	v_add_co_u32 v8, vcc_lo, v9, v8
	v_add_co_ci_u32_e32 v9, vcc_lo, 0, v10, vcc_lo
	s_delay_alu instid0(VALU_DEP_2) | instskip(NEXT) | instid1(VALU_DEP_2)
	v_add_co_u32 v2, vcc_lo, v2, v8
	v_add_co_ci_u32_e32 v7, vcc_lo, v7, v9, vcc_lo
	s_delay_alu instid0(VALU_DEP_2) | instskip(SKIP_1) | instid1(VALU_DEP_3)
	v_mul_hi_u32 v8, s2, v2
	v_mul_lo_u32 v10, s20, v2
	v_mul_lo_u32 v9, s2, v7
	s_delay_alu instid0(VALU_DEP_1) | instskip(SKIP_1) | instid1(VALU_DEP_2)
	v_add_nc_u32_e32 v8, v8, v9
	v_mul_lo_u32 v9, s2, v2
	v_add_nc_u32_e32 v8, v8, v10
	s_delay_alu instid0(VALU_DEP_2) | instskip(NEXT) | instid1(VALU_DEP_2)
	v_mul_hi_u32 v10, v2, v9
	v_mul_lo_u32 v11, v2, v8
	v_mul_hi_u32 v12, v2, v8
	v_mul_hi_u32 v13, v7, v9
	v_mul_lo_u32 v9, v7, v9
	v_mul_hi_u32 v14, v7, v8
	v_mul_lo_u32 v8, v7, v8
	v_add_co_u32 v10, vcc_lo, v10, v11
	v_add_co_ci_u32_e32 v11, vcc_lo, 0, v12, vcc_lo
	s_delay_alu instid0(VALU_DEP_2) | instskip(NEXT) | instid1(VALU_DEP_2)
	v_add_co_u32 v9, vcc_lo, v10, v9
	v_add_co_ci_u32_e32 v9, vcc_lo, v11, v13, vcc_lo
	v_add_co_ci_u32_e32 v10, vcc_lo, 0, v14, vcc_lo
	s_delay_alu instid0(VALU_DEP_2) | instskip(NEXT) | instid1(VALU_DEP_2)
	v_add_co_u32 v8, vcc_lo, v9, v8
	v_add_co_ci_u32_e32 v9, vcc_lo, 0, v10, vcc_lo
	s_delay_alu instid0(VALU_DEP_2) | instskip(NEXT) | instid1(VALU_DEP_2)
	v_add_co_u32 v2, vcc_lo, v2, v8
	v_add_co_ci_u32_e32 v13, vcc_lo, v7, v9, vcc_lo
	s_delay_alu instid0(VALU_DEP_2) | instskip(SKIP_1) | instid1(VALU_DEP_3)
	v_mul_hi_u32 v14, v5, v2
	v_mad_u64_u32 v[9:10], null, v6, v2, 0
	v_mad_u64_u32 v[7:8], null, v5, v13, 0
	;; [unrolled: 1-line block ×3, first 2 shown]
	s_delay_alu instid0(VALU_DEP_2) | instskip(NEXT) | instid1(VALU_DEP_3)
	v_add_co_u32 v2, vcc_lo, v14, v7
	v_add_co_ci_u32_e32 v7, vcc_lo, 0, v8, vcc_lo
	s_delay_alu instid0(VALU_DEP_2) | instskip(NEXT) | instid1(VALU_DEP_2)
	v_add_co_u32 v2, vcc_lo, v2, v9
	v_add_co_ci_u32_e32 v2, vcc_lo, v7, v10, vcc_lo
	v_add_co_ci_u32_e32 v7, vcc_lo, 0, v12, vcc_lo
	s_delay_alu instid0(VALU_DEP_2) | instskip(NEXT) | instid1(VALU_DEP_2)
	v_add_co_u32 v2, vcc_lo, v2, v11
	v_add_co_ci_u32_e32 v9, vcc_lo, 0, v7, vcc_lo
	s_delay_alu instid0(VALU_DEP_2) | instskip(SKIP_1) | instid1(VALU_DEP_3)
	v_mul_lo_u32 v10, s19, v2
	v_mad_u64_u32 v[7:8], null, s18, v2, 0
	v_mul_lo_u32 v11, s18, v9
	s_delay_alu instid0(VALU_DEP_2) | instskip(NEXT) | instid1(VALU_DEP_2)
	v_sub_co_u32 v7, vcc_lo, v5, v7
	v_add3_u32 v8, v8, v11, v10
	s_delay_alu instid0(VALU_DEP_1) | instskip(NEXT) | instid1(VALU_DEP_1)
	v_sub_nc_u32_e32 v10, v6, v8
	v_subrev_co_ci_u32_e64 v10, s2, s19, v10, vcc_lo
	v_add_co_u32 v11, s2, v2, 2
	s_delay_alu instid0(VALU_DEP_1) | instskip(SKIP_3) | instid1(VALU_DEP_3)
	v_add_co_ci_u32_e64 v12, s2, 0, v9, s2
	v_sub_co_u32 v13, s2, v7, s18
	v_sub_co_ci_u32_e32 v8, vcc_lo, v6, v8, vcc_lo
	v_subrev_co_ci_u32_e64 v10, s2, 0, v10, s2
	v_cmp_le_u32_e32 vcc_lo, s18, v13
	s_delay_alu instid0(VALU_DEP_3) | instskip(SKIP_1) | instid1(VALU_DEP_4)
	v_cmp_eq_u32_e64 s2, s19, v8
	v_cndmask_b32_e64 v13, 0, -1, vcc_lo
	v_cmp_le_u32_e32 vcc_lo, s19, v10
	v_cndmask_b32_e64 v14, 0, -1, vcc_lo
	v_cmp_le_u32_e32 vcc_lo, s18, v7
	;; [unrolled: 2-line block ×3, first 2 shown]
	v_cndmask_b32_e64 v15, 0, -1, vcc_lo
	v_cmp_eq_u32_e32 vcc_lo, s19, v10
	s_delay_alu instid0(VALU_DEP_2) | instskip(SKIP_3) | instid1(VALU_DEP_3)
	v_cndmask_b32_e64 v7, v15, v7, s2
	v_cndmask_b32_e32 v10, v14, v13, vcc_lo
	v_add_co_u32 v13, vcc_lo, v2, 1
	v_add_co_ci_u32_e32 v14, vcc_lo, 0, v9, vcc_lo
	v_cmp_ne_u32_e32 vcc_lo, 0, v10
	s_delay_alu instid0(VALU_DEP_2) | instskip(NEXT) | instid1(VALU_DEP_4)
	v_cndmask_b32_e32 v8, v14, v12, vcc_lo
	v_cndmask_b32_e32 v10, v13, v11, vcc_lo
	v_cmp_ne_u32_e32 vcc_lo, 0, v7
	s_delay_alu instid0(VALU_DEP_2)
	v_dual_cndmask_b32 v7, v2, v10 :: v_dual_cndmask_b32 v8, v9, v8
.LBB0_4:                                ;   in Loop: Header=BB0_2 Depth=1
	s_and_not1_saveexec_b32 s2, s3
	s_cbranch_execz .LBB0_6
; %bb.5:                                ;   in Loop: Header=BB0_2 Depth=1
	v_cvt_f32_u32_e32 v2, s18
	s_sub_i32 s3, 0, s18
	s_delay_alu instid0(VALU_DEP_1) | instskip(SKIP_2) | instid1(VALU_DEP_1)
	v_rcp_iflag_f32_e32 v2, v2
	s_waitcnt_depctr 0xfff
	v_mul_f32_e32 v2, 0x4f7ffffe, v2
	v_cvt_u32_f32_e32 v2, v2
	s_delay_alu instid0(VALU_DEP_1) | instskip(NEXT) | instid1(VALU_DEP_1)
	v_mul_lo_u32 v7, s3, v2
	v_mul_hi_u32 v7, v2, v7
	s_delay_alu instid0(VALU_DEP_1) | instskip(NEXT) | instid1(VALU_DEP_1)
	v_add_nc_u32_e32 v2, v2, v7
	v_mul_hi_u32 v2, v5, v2
	s_delay_alu instid0(VALU_DEP_1) | instskip(SKIP_1) | instid1(VALU_DEP_2)
	v_mul_lo_u32 v7, v2, s18
	v_add_nc_u32_e32 v8, 1, v2
	v_sub_nc_u32_e32 v7, v5, v7
	s_delay_alu instid0(VALU_DEP_1) | instskip(SKIP_1) | instid1(VALU_DEP_2)
	v_subrev_nc_u32_e32 v9, s18, v7
	v_cmp_le_u32_e32 vcc_lo, s18, v7
	v_dual_cndmask_b32 v7, v7, v9 :: v_dual_cndmask_b32 v2, v2, v8
	s_delay_alu instid0(VALU_DEP_1) | instskip(NEXT) | instid1(VALU_DEP_2)
	v_cmp_le_u32_e32 vcc_lo, s18, v7
	v_add_nc_u32_e32 v8, 1, v2
	s_delay_alu instid0(VALU_DEP_1)
	v_dual_cndmask_b32 v7, v2, v8 :: v_dual_mov_b32 v8, v1
.LBB0_6:                                ;   in Loop: Header=BB0_2 Depth=1
	s_or_b32 exec_lo, exec_lo, s2
	s_load_b64 s[2:3], s[12:13], 0x0
	s_delay_alu instid0(VALU_DEP_1) | instskip(NEXT) | instid1(VALU_DEP_2)
	v_mul_lo_u32 v2, v8, s18
	v_mul_lo_u32 v11, v7, s19
	v_mad_u64_u32 v[9:10], null, v7, s18, 0
	s_add_u32 s16, s16, 1
	s_addc_u32 s17, s17, 0
	s_add_u32 s12, s12, 8
	s_addc_u32 s13, s13, 0
	;; [unrolled: 2-line block ×3, first 2 shown]
	s_delay_alu instid0(VALU_DEP_1) | instskip(SKIP_1) | instid1(VALU_DEP_2)
	v_add3_u32 v2, v10, v11, v2
	v_sub_co_u32 v9, vcc_lo, v5, v9
	v_sub_co_ci_u32_e32 v2, vcc_lo, v6, v2, vcc_lo
	s_waitcnt lgkmcnt(0)
	s_delay_alu instid0(VALU_DEP_2) | instskip(NEXT) | instid1(VALU_DEP_2)
	v_mul_lo_u32 v10, s3, v9
	v_mul_lo_u32 v2, s2, v2
	v_mad_u64_u32 v[5:6], null, s2, v9, v[3:4]
	v_cmp_ge_u64_e64 s2, s[16:17], s[6:7]
	s_delay_alu instid0(VALU_DEP_1) | instskip(NEXT) | instid1(VALU_DEP_2)
	s_and_b32 vcc_lo, exec_lo, s2
	v_add3_u32 v4, v10, v6, v2
	s_delay_alu instid0(VALU_DEP_3)
	v_mov_b32_e32 v3, v5
	s_cbranch_vccnz .LBB0_9
; %bb.7:                                ;   in Loop: Header=BB0_2 Depth=1
	v_dual_mov_b32 v5, v7 :: v_dual_mov_b32 v6, v8
	s_branch .LBB0_2
.LBB0_8:
	v_dual_mov_b32 v8, v6 :: v_dual_mov_b32 v7, v5
.LBB0_9:
	s_lshl_b64 s[2:3], s[6:7], 3
	v_mul_hi_u32 v5, 0x183c978, v0
	s_add_u32 s2, s10, s2
	s_addc_u32 s3, s11, s3
                                        ; implicit-def: $vgpr14_vgpr15
                                        ; implicit-def: $vgpr18_vgpr19
                                        ; implicit-def: $vgpr22_vgpr23
                                        ; implicit-def: $vgpr30_vgpr31
                                        ; implicit-def: $vgpr34_vgpr35
                                        ; implicit-def: $vgpr38_vgpr39
                                        ; implicit-def: $vgpr42_vgpr43
                                        ; implicit-def: $vgpr46_vgpr47
                                        ; implicit-def: $vgpr54_vgpr55
                                        ; implicit-def: $vgpr58_vgpr59
                                        ; implicit-def: $vgpr62_vgpr63
                                        ; implicit-def: $vgpr50_vgpr51
                                        ; implicit-def: $vgpr26_vgpr27
	s_load_b64 s[2:3], s[2:3], 0x0
	s_load_b64 s[0:1], s[0:1], 0x20
	s_waitcnt lgkmcnt(0)
	v_mul_lo_u32 v6, s2, v8
	v_mul_lo_u32 v9, s3, v7
	v_mad_u64_u32 v[1:2], null, s2, v7, v[3:4]
	v_mul_u32_u24_e32 v3, 0xa9, v5
	v_cmp_gt_u64_e64 s0, s[0:1], v[7:8]
	s_delay_alu instid0(VALU_DEP_2) | instskip(NEXT) | instid1(VALU_DEP_4)
	v_sub_nc_u32_e32 v64, v0, v3
	v_add3_u32 v2, v9, v2, v6
	s_delay_alu instid0(VALU_DEP_2) | instskip(NEXT) | instid1(VALU_DEP_2)
	v_cmp_gt_u32_e32 vcc_lo, 0x82, v64
	v_lshlrev_b64 v[66:67], 4, v[1:2]
	s_and_b32 s33, s0, vcc_lo
	s_delay_alu instid0(SALU_CYCLE_1)
	s_and_saveexec_b32 s1, s33
	s_cbranch_execz .LBB0_11
; %bb.10:
	v_mov_b32_e32 v65, 0
	s_delay_alu instid0(VALU_DEP_2) | instskip(NEXT) | instid1(VALU_DEP_1)
	v_add_co_u32 v2, s0, s8, v66
	v_add_co_ci_u32_e64 v3, s0, s9, v67, s0
	s_delay_alu instid0(VALU_DEP_3) | instskip(NEXT) | instid1(VALU_DEP_1)
	v_lshlrev_b64 v[0:1], 4, v[64:65]
	v_add_co_u32 v0, s0, v2, v0
	s_delay_alu instid0(VALU_DEP_1) | instskip(SKIP_4) | instid1(VALU_DEP_1)
	v_add_co_ci_u32_e64 v1, s0, v3, v1, s0
	s_clause 0x1
	global_load_b128 v[24:27], v[0:1], off
	global_load_b128 v[48:51], v[0:1], off offset:2080
	v_add_co_u32 v2, s0, 0x1000, v0
	v_add_co_ci_u32_e64 v3, s0, 0, v1, s0
	v_add_co_u32 v4, s0, 0x2000, v0
	s_delay_alu instid0(VALU_DEP_1) | instskip(SKIP_1) | instid1(VALU_DEP_1)
	v_add_co_ci_u32_e64 v5, s0, 0, v1, s0
	v_add_co_u32 v6, s0, 0x3000, v0
	v_add_co_ci_u32_e64 v7, s0, 0, v1, s0
	s_clause 0x5
	global_load_b128 v[60:63], v[2:3], off offset:64
	global_load_b128 v[56:59], v[2:3], off offset:2144
	;; [unrolled: 1-line block ×6, first 2 shown]
	v_add_co_u32 v2, s0, 0x4000, v0
	s_delay_alu instid0(VALU_DEP_1) | instskip(SKIP_1) | instid1(VALU_DEP_1)
	v_add_co_ci_u32_e64 v3, s0, 0, v1, s0
	v_add_co_u32 v4, s0, 0x5000, v0
	v_add_co_ci_u32_e64 v5, s0, 0, v1, s0
	v_add_co_u32 v0, s0, 0x6000, v0
	s_delay_alu instid0(VALU_DEP_1)
	v_add_co_ci_u32_e64 v1, s0, 0, v1, s0
	s_clause 0x4
	global_load_b128 v[32:35], v[2:3], off offset:256
	global_load_b128 v[28:31], v[2:3], off offset:2336
	;; [unrolled: 1-line block ×5, first 2 shown]
.LBB0_11:
	s_or_b32 exec_lo, exec_lo, s1
	s_waitcnt vmcnt(0)
	v_add_f64 v[70:71], v[50:51], -v[14:15]
	v_add_f64 v[86:87], v[48:49], -v[12:13]
	s_mov_b32 s0, 0x4267c47c
	s_mov_b32 s2, 0x42a4c3d2
	;; [unrolled: 1-line block ×6, first 2 shown]
	v_add_f64 v[80:81], v[12:13], v[48:49]
	v_add_f64 v[68:69], v[62:63], -v[18:19]
	v_add_f64 v[74:75], v[14:15], v[50:51]
	v_add_f64 v[72:73], v[60:61], -v[16:17]
	s_mov_b32 s20, 0xe00740e9
	s_mov_b32 s10, 0x1ea71119
	;; [unrolled: 1-line block ×10, first 2 shown]
	v_add_f64 v[176:177], v[16:17], v[60:61]
	v_add_f64 v[164:165], v[58:59], -v[22:23]
	v_add_f64 v[132:133], v[18:19], v[62:63]
	v_add_f64 v[184:185], v[56:57], -v[20:21]
	s_mov_b32 s16, 0xb2365da1
	s_mov_b32 s24, 0x93053d00
	;; [unrolled: 1-line block ×6, first 2 shown]
	v_add_f64 v[182:183], v[20:21], v[56:57]
	v_add_f64 v[140:141], v[22:23], v[58:59]
	v_add_f64 v[88:89], v[54:55], -v[30:31]
	v_add_f64 v[122:123], v[52:53], -v[28:29]
	s_mov_b32 s34, 0x24c2f84
	s_mov_b32 s35, 0x3fe5384d
	v_mul_f64 v[76:77], v[70:71], s[0:1]
	v_mul_f64 v[78:79], v[86:87], s[0:1]
	;; [unrolled: 1-line block ×6, first 2 shown]
	s_mov_b32 s29, 0x3fddbe06
	s_mov_b32 s28, s0
	v_add_f64 v[186:187], v[28:29], v[52:53]
	v_mul_f64 v[130:131], v[68:69], s[2:3]
	v_mul_f64 v[144:145], v[68:69], s[12:13]
	;; [unrolled: 1-line block ×6, first 2 shown]
	v_add_f64 v[104:105], v[30:31], v[54:55]
	v_add_f64 v[84:85], v[46:47], -v[34:35]
	v_add_f64 v[142:143], v[44:45], -v[32:33]
	s_mov_b32 s30, 0xd0032e0c
	s_mov_b32 s31, 0xbfe7f3cc
	;; [unrolled: 1-line block ×5, first 2 shown]
	v_mul_f64 v[146:147], v[164:165], s[6:7]
	v_mul_f64 v[156:157], v[164:165], s[22:23]
	;; [unrolled: 1-line block ×6, first 2 shown]
	s_mov_b32 s26, s6
	v_add_f64 v[174:175], v[32:33], v[44:45]
	v_add_f64 v[158:159], v[40:41], -v[36:37]
	v_mul_f64 v[118:119], v[88:89], s[12:13]
	v_mul_f64 v[120:121], v[122:123], s[12:13]
	;; [unrolled: 1-line block ×4, first 2 shown]
	v_fma_f64 v[0:1], v[80:81], s[20:21], -v[76:77]
	v_fma_f64 v[2:3], v[74:75], s[20:21], v[78:79]
	v_fma_f64 v[4:5], v[80:81], s[10:11], -v[168:169]
	v_fma_f64 v[6:7], v[74:75], s[10:11], v[170:171]
	;; [unrolled: 2-line block ×3, first 2 shown]
	v_mul_f64 v[134:135], v[88:89], s[28:29]
	v_mul_f64 v[138:139], v[122:123], s[28:29]
	v_fma_f64 v[82:83], v[176:177], s[10:11], -v[130:131]
	v_fma_f64 v[92:93], v[176:177], s[16:17], -v[144:145]
	v_fma_f64 v[90:91], v[132:133], s[10:11], v[136:137]
	v_fma_f64 v[94:95], v[132:133], s[16:17], v[148:149]
	v_fma_f64 v[96:97], v[176:177], s[24:25], -v[152:153]
	v_fma_f64 v[98:99], v[132:133], s[24:25], v[154:155]
	v_mul_f64 v[106:107], v[84:85], s[36:37]
	v_mul_f64 v[110:111], v[142:143], s[36:37]
	;; [unrolled: 1-line block ×6, first 2 shown]
	v_fma_f64 v[100:101], v[182:183], s[14:15], -v[146:147]
	v_fma_f64 v[108:109], v[182:183], s[24:25], -v[156:157]
	v_fma_f64 v[102:103], v[140:141], s[14:15], v[150:151]
	v_fma_f64 v[172:173], v[140:141], s[24:25], v[160:161]
	v_fma_f64 v[188:189], v[182:183], s[16:17], -v[162:163]
	v_fma_f64 v[190:191], v[140:141], s[16:17], v[166:167]
	v_fma_f64 v[192:193], v[186:187], s[16:17], -v[118:119]
	;; [unrolled: 2-line block ×3, first 2 shown]
	v_fma_f64 v[198:199], v[104:105], s[30:31], v[128:129]
	v_add_f64 v[0:1], v[24:25], v[0:1]
	v_add_f64 v[2:3], v[26:27], v[2:3]
	v_add_f64 v[4:5], v[24:25], v[4:5]
	v_add_f64 v[6:7], v[26:27], v[6:7]
	v_add_f64 v[8:9], v[24:25], v[8:9]
	v_add_f64 v[10:11], v[26:27], v[10:11]
	v_fma_f64 v[200:201], v[186:187], s[20:21], -v[134:135]
	v_fma_f64 v[202:203], v[104:105], s[20:21], v[138:139]
	v_fma_f64 v[204:205], v[174:175], s[14:15], -v[112:113]
	v_fma_f64 v[208:209], v[174:175], s[10:11], -v[116:117]
	v_add_f64 v[0:1], v[82:83], v[0:1]
	v_add_f64 v[2:3], v[90:91], v[2:3]
	;; [unrolled: 1-line block ×7, first 2 shown]
	v_add_f64 v[82:83], v[42:43], -v[38:39]
	v_add_f64 v[90:91], v[38:39], v[42:43]
	v_mul_f64 v[94:95], v[158:159], s[22:23]
	v_add_f64 v[0:1], v[100:101], v[0:1]
	v_add_f64 v[2:3], v[102:103], v[2:3]
	;; [unrolled: 1-line block ×7, first 2 shown]
	v_mul_f64 v[92:93], v[82:83], s[22:23]
	v_mul_f64 v[96:97], v[82:83], s[28:29]
	;; [unrolled: 1-line block ×5, first 2 shown]
	v_fma_f64 v[188:189], v[174:175], s[30:31], -v[106:107]
	v_fma_f64 v[190:191], v[98:99], s[30:31], v[110:111]
	v_fma_f64 v[206:207], v[98:99], s[14:15], v[114:115]
	;; [unrolled: 1-line block ×3, first 2 shown]
	v_add_f64 v[0:1], v[192:193], v[0:1]
	v_add_f64 v[2:3], v[194:195], v[2:3]
	;; [unrolled: 1-line block ×6, first 2 shown]
	v_fma_f64 v[194:195], v[90:91], s[24:25], v[94:95]
	v_fma_f64 v[192:193], v[172:173], s[24:25], -v[92:93]
	v_fma_f64 v[196:197], v[172:173], s[20:21], -v[96:97]
	v_fma_f64 v[198:199], v[90:91], s[20:21], v[100:101]
	v_fma_f64 v[200:201], v[172:173], s[30:31], -v[102:103]
	v_fma_f64 v[202:203], v[90:91], s[30:31], v[108:109]
	v_add_f64 v[0:1], v[188:189], v[0:1]
	v_add_f64 v[2:3], v[190:191], v[2:3]
	;; [unrolled: 1-line block ×12, first 2 shown]
	s_and_saveexec_b32 s42, vcc_lo
	s_cbranch_execz .LBB0_13
; %bb.12:
	v_add_f64 v[48:49], v[48:49], v[24:25]
	v_add_f64 v[50:51], v[50:51], v[26:27]
	v_mul_f64 v[188:189], v[86:87], s[36:37]
	v_mul_f64 v[190:191], v[74:75], s[10:11]
	;; [unrolled: 1-line block ×4, first 2 shown]
	s_mov_b32 s41, 0x3fcea1e5
	s_mov_b32 s40, s22
	v_mul_f64 v[208:209], v[176:177], s[20:21]
	v_mul_f64 v[226:227], v[132:133], s[16:17]
	;; [unrolled: 1-line block ×18, first 2 shown]
	s_mov_b32 s39, 0x3fea55e2
	s_mov_b32 s38, s2
	v_mul_f64 v[214:215], v[104:105], s[20:21]
	v_mul_f64 v[222:223], v[104:105], s[30:31]
	v_mul_f64 v[228:229], v[186:187], s[30:31]
	v_mul_f64 v[196:197], v[186:187], s[10:11]
	v_mul_f64 v[200:201], v[186:187], s[24:25]
	v_mul_f64 v[202:203], v[186:187], s[14:15]
	v_mul_f64 v[234:235], v[104:105], s[16:17]
	v_add_f64 v[48:49], v[60:61], v[48:49]
	v_add_f64 v[50:51], v[62:63], v[50:51]
	v_mul_f64 v[60:61], v[86:87], s[22:23]
	v_mul_f64 v[62:63], v[80:81], s[14:15]
	;; [unrolled: 1-line block ×3, first 2 shown]
	v_fma_f64 v[246:247], v[74:75], s[30:31], v[188:189]
	v_fma_f64 v[188:189], v[74:75], s[30:31], -v[188:189]
	v_add_f64 v[78:79], v[194:195], -v[78:79]
	v_add_f64 v[148:149], v[226:227], -v[148:149]
	v_add_f64 v[144:145], v[144:145], v[232:233]
	v_add_f64 v[152:153], v[152:153], v[220:221]
	v_mul_f64 v[220:221], v[142:143], s[12:13]
	v_mul_f64 v[232:233], v[98:99], s[14:15]
	v_add_f64 v[130:131], v[130:131], v[176:177]
	v_add_f64 v[160:161], v[224:225], -v[160:161]
	v_add_f64 v[156:157], v[156:157], v[230:231]
	v_mul_f64 v[224:225], v[142:143], s[28:29]
	v_mul_f64 v[142:143], v[142:143], s[40:41]
	v_add_f64 v[166:167], v[216:217], -v[166:167]
	v_add_f64 v[162:163], v[162:163], v[218:219]
	v_mul_f64 v[216:217], v[174:175], s[20:21]
	v_fma_f64 v[194:195], v[164:165], s[38:39], v[204:205]
	v_mul_f64 v[218:219], v[174:175], s[24:25]
	v_fma_f64 v[176:177], v[140:141], s[20:21], v[184:185]
	v_add_f64 v[150:151], v[240:241], -v[150:151]
	v_mul_f64 v[240:241], v[172:173], s[20:21]
	v_mul_f64 v[230:231], v[172:173], s[24:25]
	v_add_f64 v[128:129], v[222:223], -v[128:129]
	v_add_f64 v[124:125], v[124:125], v[228:229]
	v_add_f64 v[120:121], v[234:235], -v[120:121]
	v_add_f64 v[48:49], v[56:57], v[48:49]
	v_add_f64 v[50:51], v[58:59], v[50:51]
	v_mul_f64 v[56:57], v[80:81], s[16:17]
	v_mul_f64 v[58:59], v[74:75], s[14:15]
	v_fma_f64 v[242:243], v[74:75], s[24:25], v[60:61]
	v_fma_f64 v[60:61], v[74:75], s[24:25], -v[60:61]
	v_fma_f64 v[250:251], v[74:75], s[16:17], v[86:87]
	v_fma_f64 v[74:75], v[74:75], s[16:17], -v[86:87]
	v_add_f64 v[86:87], v[168:169], v[192:193]
	v_add_f64 v[62:63], v[178:179], v[62:63]
	v_mul_f64 v[168:169], v[72:73], s[26:27]
	v_add_f64 v[246:247], v[26:27], v[246:247]
	v_add_f64 v[188:189], v[26:27], v[188:189]
	v_mul_f64 v[178:179], v[122:123], s[6:7]
	v_fma_f64 v[192:193], v[164:165], s[36:37], v[198:199]
	v_add_f64 v[114:115], v[232:233], -v[114:115]
	v_add_f64 v[96:97], v[96:97], v[240:241]
	v_add_f64 v[92:93], v[92:93], v[230:231]
	;; [unrolled: 1-line block ×4, first 2 shown]
	v_mul_f64 v[52:53], v[80:81], s[24:25]
	v_mul_f64 v[54:55], v[80:81], s[30:31]
	;; [unrolled: 1-line block ×3, first 2 shown]
	v_fma_f64 v[252:253], v[70:71], s[18:19], v[56:57]
	v_fma_f64 v[56:57], v[70:71], s[12:13], v[56:57]
	v_add_f64 v[58:59], v[58:59], -v[180:181]
	v_add_f64 v[242:243], v[26:27], v[242:243]
	v_add_f64 v[60:61], v[26:27], v[60:61]
	;; [unrolled: 1-line block ×6, first 2 shown]
	v_mul_f64 v[180:181], v[174:175], s[30:31]
	v_add_f64 v[44:45], v[44:45], v[48:49]
	v_add_f64 v[46:47], v[46:47], v[50:51]
	v_mul_f64 v[48:49], v[132:133], s[24:25]
	v_fma_f64 v[244:245], v[70:71], s[40:41], v[52:53]
	v_fma_f64 v[52:53], v[70:71], s[22:23], v[52:53]
	;; [unrolled: 1-line block ×4, first 2 shown]
	v_add_f64 v[70:71], v[190:191], -v[170:171]
	v_add_f64 v[76:77], v[76:77], v[80:81]
	v_mul_f64 v[80:81], v[72:73], s[28:29]
	v_mul_f64 v[72:73], v[72:73], s[34:35]
	v_add_f64 v[58:59], v[26:27], v[58:59]
	v_add_f64 v[252:253], v[24:25], v[252:253]
	;; [unrolled: 1-line block ×3, first 2 shown]
	v_mul_f64 v[170:171], v[182:183], s[14:15]
	v_mul_f64 v[50:51], v[186:187], s[20:21]
	v_fma_f64 v[190:191], v[164:165], s[34:35], v[198:199]
	v_add_f64 v[62:63], v[152:153], v[62:63]
	v_fma_f64 v[198:199], v[164:165], s[2:3], v[204:205]
	v_fma_f64 v[204:205], v[164:165], s[0:1], v[206:207]
	;; [unrolled: 1-line block ×3, first 2 shown]
	v_mul_f64 v[206:207], v[98:99], s[10:11]
	v_mul_f64 v[182:183], v[98:99], s[30:31]
	v_fma_f64 v[152:153], v[98:99], s[16:17], -v[220:221]
	v_add_f64 v[106:107], v[106:107], v[180:181]
	v_add_f64 v[40:41], v[40:41], v[44:45]
	;; [unrolled: 1-line block ×3, first 2 shown]
	v_mul_f64 v[44:45], v[132:133], s[10:11]
	v_add_f64 v[48:49], v[48:49], -v[154:155]
	v_add_f64 v[52:53], v[24:25], v[52:53]
	v_add_f64 v[244:245], v[24:25], v[244:245]
	;; [unrolled: 1-line block ×5, first 2 shown]
	v_fma_f64 v[78:79], v[68:69], s[28:29], v[208:209]
	v_add_f64 v[54:55], v[24:25], v[54:55]
	v_add_f64 v[24:25], v[24:25], v[76:77]
	v_fma_f64 v[76:77], v[68:69], s[0:1], v[208:209]
	v_fma_f64 v[154:155], v[132:133], s[14:15], v[168:169]
	;; [unrolled: 1-line block ×3, first 2 shown]
	v_fma_f64 v[226:227], v[132:133], s[30:31], -v[72:73]
	v_fma_f64 v[168:169], v[132:133], s[14:15], -v[168:169]
	v_fma_f64 v[72:73], v[132:133], s[30:31], v[72:73]
	v_mul_f64 v[46:47], v[186:187], s[16:17]
	v_add_f64 v[146:147], v[146:147], v[170:171]
	v_mul_f64 v[186:187], v[174:175], s[14:15]
	v_add_f64 v[50:51], v[134:135], v[50:51]
	v_fma_f64 v[134:135], v[104:105], s[14:15], -v[178:179]
	v_add_f64 v[62:63], v[162:163], v[62:63]
	v_mul_f64 v[170:171], v[90:91], s[20:21]
	v_add_f64 v[126:127], v[206:207], -v[126:127]
	v_add_f64 v[110:111], v[182:183], -v[110:111]
	v_add_f64 v[36:37], v[36:37], v[40:41]
	v_fma_f64 v[40:41], v[132:133], s[20:21], v[80:81]
	v_fma_f64 v[80:81], v[132:133], s[20:21], -v[80:81]
	v_add_f64 v[38:39], v[38:39], v[42:43]
	v_fma_f64 v[42:43], v[68:69], s[26:27], v[210:211]
	v_fma_f64 v[210:211], v[68:69], s[36:37], v[212:213]
	;; [unrolled: 1-line block ×3, first 2 shown]
	v_add_f64 v[44:45], v[44:45], -v[136:137]
	v_fma_f64 v[132:133], v[140:141], s[30:31], v[236:237]
	v_add_f64 v[52:53], v[78:79], v[52:53]
	v_mul_f64 v[78:79], v[122:123], s[38:39]
	v_add_f64 v[48:49], v[48:49], v[58:59]
	v_add_f64 v[58:59], v[148:149], v[70:71]
	;; [unrolled: 1-line block ×3, first 2 shown]
	v_fma_f64 v[236:237], v[140:141], s[30:31], -v[236:237]
	v_fma_f64 v[136:137], v[140:141], s[10:11], v[238:239]
	v_add_f64 v[76:77], v[76:77], v[244:245]
	v_mul_f64 v[122:123], v[122:123], s[40:41]
	v_add_f64 v[154:155], v[154:155], v[246:247]
	v_fma_f64 v[238:239], v[140:141], s[10:11], -v[238:239]
	v_fma_f64 v[140:141], v[140:141], s[20:21], -v[184:185]
	v_add_f64 v[74:75], v[226:227], v[74:75]
	v_add_f64 v[168:169], v[168:169], v[188:189]
	;; [unrolled: 1-line block ×4, first 2 shown]
	v_add_f64 v[130:131], v[214:215], -v[138:139]
	v_mul_f64 v[212:213], v[174:175], s[16:17]
	v_mul_f64 v[174:175], v[174:175], s[10:11]
	v_add_f64 v[46:47], v[118:119], v[46:47]
	v_fma_f64 v[118:119], v[104:105], s[14:15], v[178:179]
	v_fma_f64 v[86:87], v[88:89], s[26:27], v[202:203]
	v_add_f64 v[112:113], v[112:113], v[186:187]
	v_mul_f64 v[244:245], v[90:91], s[30:31]
	v_mul_f64 v[248:249], v[158:159], s[12:13]
	v_add_f64 v[50:51], v[50:51], v[62:63]
	v_mul_f64 v[246:247], v[172:173], s[14:15]
	v_mul_f64 v[188:189], v[172:173], s[16:17]
	v_fma_f64 v[148:149], v[84:85], s[22:23], v[218:219]
	v_add_f64 v[32:33], v[32:33], v[36:37]
	v_add_f64 v[40:41], v[40:41], v[242:243]
	;; [unrolled: 1-line block ×9, first 2 shown]
	v_fma_f64 v[36:37], v[88:89], s[2:3], v[196:197]
	v_fma_f64 v[138:139], v[104:105], s[10:11], v[78:79]
	;; [unrolled: 1-line block ×3, first 2 shown]
	v_add_f64 v[58:59], v[160:161], v[58:59]
	v_add_f64 v[70:71], v[156:157], v[70:71]
	v_fma_f64 v[78:79], v[104:105], s[10:11], -v[78:79]
	v_add_f64 v[52:53], v[192:193], v[52:53]
	v_add_f64 v[76:77], v[190:191], v[76:77]
	v_fma_f64 v[144:145], v[104:105], s[24:25], v[122:123]
	v_fma_f64 v[104:105], v[104:105], s[24:25], -v[122:123]
	v_add_f64 v[122:123], v[136:137], v[154:155]
	v_add_f64 v[48:49], v[166:167], v[48:49]
	v_fma_f64 v[44:45], v[88:89], s[22:23], v[200:201]
	v_fma_f64 v[72:73], v[88:89], s[40:41], v[200:201]
	;; [unrolled: 1-line block ×3, first 2 shown]
	v_add_f64 v[74:75], v[140:141], v[74:75]
	v_add_f64 v[136:137], v[238:239], v[168:169]
	v_add_f64 v[24:25], v[146:147], v[24:25]
	v_mul_f64 v[80:81], v[158:159], s[26:27]
	v_mul_f64 v[242:243], v[172:173], s[30:31]
	v_fma_f64 v[154:155], v[98:99], s[20:21], v[224:225]
	v_add_f64 v[116:117], v[116:117], v[174:175]
	v_mul_f64 v[172:173], v[172:173], s[10:11]
	v_mul_f64 v[158:159], v[158:159], s[38:39]
	v_fma_f64 v[140:141], v[84:85], s[0:1], v[216:217]
	v_fma_f64 v[146:147], v[84:85], s[28:29], v[216:217]
	v_fma_f64 v[156:157], v[98:99], s[20:21], -v[224:225]
	v_fma_f64 v[160:161], v[98:99], s[24:25], v[142:143]
	v_mul_f64 v[184:185], v[90:91], s[24:25]
	v_add_f64 v[28:29], v[28:29], v[32:33]
	v_add_f64 v[40:41], v[132:133], v[40:41]
	v_add_f64 v[60:61], v[236:237], v[60:61]
	v_add_f64 v[132:133], v[194:195], v[208:209]
	v_add_f64 v[42:43], v[198:199], v[42:43]
	v_add_f64 v[54:55], v[176:177], v[54:55]
	v_add_f64 v[56:57], v[164:165], v[56:57]
	v_add_f64 v[68:69], v[204:205], v[68:69]
	v_add_f64 v[30:31], v[30:31], v[34:35]
	v_add_f64 v[26:27], v[150:151], v[26:27]
	v_fma_f64 v[150:151], v[98:99], s[16:17], v[220:221]
	v_fma_f64 v[32:33], v[84:85], s[18:19], v[212:213]
	v_add_f64 v[58:59], v[128:129], v[58:59]
	v_add_f64 v[70:71], v[124:125], v[70:71]
	v_fma_f64 v[34:35], v[84:85], s[12:13], v[212:213]
	v_add_f64 v[38:39], v[38:39], v[52:53]
	v_add_f64 v[36:37], v[36:37], v[76:77]
	v_fma_f64 v[84:85], v[84:85], s[40:41], v[218:219]
	v_fma_f64 v[98:99], v[98:99], s[24:25], -v[142:143]
	v_add_f64 v[52:53], v[144:145], v[122:123]
	v_add_f64 v[48:49], v[130:131], v[48:49]
	v_add_f64 v[100:101], v[170:171], -v[100:101]
	v_add_f64 v[74:75], v[134:135], v[74:75]
	v_add_f64 v[76:77], v[104:105], v[136:137]
	;; [unrolled: 1-line block ×3, first 2 shown]
	v_fma_f64 v[46:47], v[90:91], s[14:15], -v[80:81]
	v_add_f64 v[104:105], v[244:245], -v[108:109]
	v_add_f64 v[102:103], v[102:103], v[242:243]
	v_add_f64 v[50:51], v[116:117], v[50:51]
	v_fma_f64 v[108:109], v[90:91], s[10:11], v[158:159]
	v_add_f64 v[94:95], v[184:185], -v[94:95]
	v_add_f64 v[20:21], v[20:21], v[28:29]
	v_add_f64 v[40:41], v[138:139], v[40:41]
	;; [unrolled: 1-line block ×10, first 2 shown]
	v_fma_f64 v[28:29], v[90:91], s[14:15], v[80:81]
	v_fma_f64 v[72:73], v[90:91], s[16:17], v[248:249]
	v_add_f64 v[58:59], v[114:115], v[58:59]
	v_add_f64 v[70:71], v[112:113], v[70:71]
	v_fma_f64 v[30:31], v[82:83], s[6:7], v[246:247]
	v_add_f64 v[34:35], v[34:35], v[38:39]
	v_add_f64 v[32:33], v[32:33], v[36:37]
	v_fma_f64 v[68:69], v[82:83], s[26:27], v[246:247]
	v_fma_f64 v[78:79], v[82:83], s[18:19], v[188:189]
	v_add_f64 v[38:39], v[154:155], v[52:53]
	v_add_f64 v[48:49], v[126:127], v[48:49]
	v_fma_f64 v[80:81], v[90:91], s[16:17], -v[248:249]
	v_fma_f64 v[86:87], v[82:83], s[12:13], v[188:189]
	v_fma_f64 v[88:89], v[82:83], s[2:3], v[172:173]
	;; [unrolled: 1-line block ×3, first 2 shown]
	v_fma_f64 v[90:91], v[90:91], s[10:11], -v[158:159]
	v_add_f64 v[52:53], v[156:157], v[76:77]
	v_add_f64 v[106:107], v[106:107], v[24:25]
	;; [unrolled: 1-line block ×20, first 2 shown]
	v_mad_u32_u24 v52, 0xd0, v64, 0
	v_add_f64 v[18:19], v[28:29], v[40:41]
	v_add_f64 v[40:41], v[96:97], v[70:71]
	;; [unrolled: 1-line block ×13, first 2 shown]
	ds_store_b128 v52, v[0:3] offset:160
	ds_store_b128 v52, v[4:7] offset:176
	;; [unrolled: 1-line block ×10, first 2 shown]
	ds_store_b128 v52, v[12:15]
	ds_store_b128 v52, v[48:51] offset:16
	ds_store_b128 v52, v[8:11] offset:192
.LBB0_13:
	s_or_b32 exec_lo, exec_lo, s42
	v_and_b32_e32 v12, 0xff, v64
	s_waitcnt lgkmcnt(0)
	s_barrier
	buffer_gl0_inv
	v_lshl_add_u32 v52, v64, 4, 0
	v_mul_lo_u16 v12, 0x4f, v12
	s_mov_b32 s6, 0x134454ff
	s_mov_b32 s7, 0xbfee6f0e
	;; [unrolled: 1-line block ×4, first 2 shown]
	v_lshrrev_b16 v53, 10, v12
	s_mov_b32 s12, 0x4755a5e
	s_mov_b32 s13, 0xbfe2cf23
	;; [unrolled: 1-line block ×4, first 2 shown]
	v_mul_lo_u16 v12, v53, 13
	s_mov_b32 s10, 0x372fe950
	s_mov_b32 s11, 0x3fd3c6ef
	;; [unrolled: 1-line block ×4, first 2 shown]
	v_sub_nc_u16 v12, v64, v12
	s_mov_b32 s17, 0xbfd3c6ef
	s_mov_b32 s19, 0xbfe9e377
	;; [unrolled: 1-line block ×4, first 2 shown]
	v_and_b32_e32 v54, 0xff, v12
	v_and_b32_e32 v53, 0xffff, v53
	s_delay_alu instid0(VALU_DEP_2) | instskip(NEXT) | instid1(VALU_DEP_2)
	v_mul_u32_u24_e32 v12, 9, v54
	v_mul_u32_u24_e32 v53, 0x820, v53
	v_lshlrev_b32_e32 v54, 4, v54
	s_delay_alu instid0(VALU_DEP_3)
	v_lshlrev_b32_e32 v44, 4, v12
	s_clause 0x8
	global_load_b128 v[12:15], v44, s[4:5] offset:32
	global_load_b128 v[16:19], v44, s[4:5] offset:64
	;; [unrolled: 1-line block ×4, first 2 shown]
	global_load_b128 v[28:31], v44, s[4:5]
	global_load_b128 v[32:35], v44, s[4:5] offset:16
	global_load_b128 v[36:39], v44, s[4:5] offset:48
	global_load_b128 v[40:43], v44, s[4:5] offset:80
	global_load_b128 v[44:47], v44, s[4:5] offset:112
	ds_load_b128 v[48:51], v52 offset:8112
	ds_load_b128 v[55:58], v52 offset:13520
	;; [unrolled: 1-line block ×6, first 2 shown]
	v_add3_u32 v53, 0, v53, v54
	s_waitcnt vmcnt(8) lgkmcnt(5)
	v_mul_f64 v[80:81], v[48:49], v[14:15]
	s_waitcnt vmcnt(7) lgkmcnt(4)
	v_mul_f64 v[82:83], v[55:56], v[18:19]
	;; [unrolled: 2-line block ×5, first 2 shown]
	v_mul_f64 v[14:15], v[50:51], v[14:15]
	v_mul_f64 v[18:19], v[57:58], v[18:19]
	;; [unrolled: 1-line block ×4, first 2 shown]
	s_waitcnt vmcnt(3) lgkmcnt(0)
	v_mul_f64 v[94:95], v[78:79], v[34:35]
	v_mul_f64 v[34:35], v[76:77], v[34:35]
	;; [unrolled: 1-line block ×3, first 2 shown]
	v_fma_f64 v[50:51], v[50:51], v[12:13], -v[80:81]
	v_fma_f64 v[57:58], v[57:58], v[16:17], -v[82:83]
	;; [unrolled: 1-line block ×4, first 2 shown]
	ds_load_b128 v[80:83], v52 offset:10816
	ds_load_b128 v[84:87], v52 offset:16224
	;; [unrolled: 1-line block ×3, first 2 shown]
	v_fma_f64 v[48:49], v[48:49], v[12:13], v[14:15]
	v_fma_f64 v[16:17], v[55:56], v[16:17], v[18:19]
	;; [unrolled: 1-line block ×4, first 2 shown]
	v_fma_f64 v[22:23], v[74:75], v[28:29], -v[92:93]
	v_fma_f64 v[24:25], v[76:77], v[32:33], v[94:95]
	v_fma_f64 v[26:27], v[78:79], v[32:33], -v[34:35]
	v_fma_f64 v[28:29], v[72:73], v[28:29], v[30:31]
	s_waitcnt vmcnt(2) lgkmcnt(2)
	v_mul_f64 v[96:97], v[82:83], v[38:39]
	v_mul_f64 v[38:39], v[80:81], v[38:39]
	s_waitcnt vmcnt(1) lgkmcnt(1)
	v_mul_f64 v[98:99], v[86:87], v[42:43]
	s_waitcnt vmcnt(0) lgkmcnt(0)
	v_mul_f64 v[100:101], v[90:91], v[46:47]
	v_mul_f64 v[42:43], v[84:85], v[42:43]
	;; [unrolled: 1-line block ×3, first 2 shown]
	v_add_f64 v[12:13], v[57:58], v[61:62]
	v_add_f64 v[14:15], v[50:51], v[70:71]
	v_add_f64 v[104:105], v[48:49], -v[16:17]
	v_add_f64 v[30:31], v[16:17], v[18:19]
	v_add_f64 v[55:56], v[16:17], -v[18:19]
	v_add_f64 v[106:107], v[20:21], -v[18:19]
	v_add_f64 v[108:109], v[18:19], -v[20:21]
	v_fma_f64 v[32:33], v[80:81], v[36:37], v[96:97]
	v_fma_f64 v[34:35], v[82:83], v[36:37], -v[38:39]
	v_fma_f64 v[36:37], v[84:85], v[40:41], v[98:99]
	v_fma_f64 v[38:39], v[88:89], v[44:45], v[100:101]
	v_fma_f64 v[40:41], v[86:87], v[40:41], -v[42:43]
	v_fma_f64 v[42:43], v[90:91], v[44:45], -v[46:47]
	v_add_f64 v[44:45], v[48:49], v[20:21]
	v_add_f64 v[46:47], v[48:49], -v[20:21]
	v_add_f64 v[80:81], v[50:51], -v[70:71]
	;; [unrolled: 1-line block ×7, first 2 shown]
	v_fma_f64 v[59:60], v[12:13], -0.5, v[22:23]
	v_fma_f64 v[68:69], v[14:15], -0.5, v[22:23]
	ds_load_b128 v[12:15], v52
	v_add_f64 v[22:23], v[22:23], v[50:51]
	s_waitcnt lgkmcnt(0)
	v_fma_f64 v[30:31], v[30:31], -0.5, v[28:29]
	s_barrier
	buffer_gl0_inv
	v_add_f64 v[110:111], v[26:27], -v[34:35]
	v_add_f64 v[72:73], v[32:33], v[36:37]
	v_add_f64 v[74:75], v[24:25], v[38:39]
	;; [unrolled: 1-line block ×4, first 2 shown]
	v_fma_f64 v[44:45], v[44:45], -0.5, v[28:29]
	v_add_f64 v[96:97], v[12:13], v[24:25]
	v_add_f64 v[98:99], v[26:27], -v[42:43]
	v_add_f64 v[100:101], v[34:35], -v[40:41]
	v_add_f64 v[102:103], v[14:15], v[26:27]
	v_add_f64 v[28:29], v[28:29], v[48:49]
	v_add_f64 v[48:49], v[16:17], -v[48:49]
	v_add_f64 v[112:113], v[42:43], -v[40:41]
	;; [unrolled: 1-line block ×4, first 2 shown]
	v_fma_f64 v[92:93], v[46:47], s[0:1], v[59:60]
	v_fma_f64 v[94:95], v[55:56], s[6:7], v[68:69]
	;; [unrolled: 1-line block ×4, first 2 shown]
	v_add_f64 v[22:23], v[22:23], v[57:58]
	v_fma_f64 v[50:51], v[72:73], -0.5, v[12:13]
	v_add_f64 v[72:73], v[24:25], -v[38:39]
	v_fma_f64 v[12:13], v[74:75], -0.5, v[12:13]
	v_add_f64 v[74:75], v[32:33], -v[36:37]
	v_fma_f64 v[76:77], v[76:77], -0.5, v[14:15]
	v_fma_f64 v[14:15], v[78:79], -0.5, v[14:15]
	v_add_f64 v[78:79], v[82:83], v[84:85]
	v_add_f64 v[82:83], v[86:87], v[88:89]
	v_fma_f64 v[84:85], v[80:81], s[6:7], v[30:31]
	v_fma_f64 v[30:31], v[80:81], s[0:1], v[30:31]
	;; [unrolled: 1-line block ×4, first 2 shown]
	v_add_f64 v[34:35], v[102:103], v[34:35]
	v_add_f64 v[16:17], v[28:29], v[16:17]
	;; [unrolled: 1-line block ×4, first 2 shown]
	v_fma_f64 v[88:89], v[55:56], s[2:3], v[92:93]
	v_fma_f64 v[92:93], v[46:47], s[2:3], v[94:95]
	;; [unrolled: 1-line block ×4, first 2 shown]
	v_add_f64 v[59:60], v[24:25], -v[32:33]
	v_add_f64 v[68:69], v[38:39], -v[36:37]
	;; [unrolled: 1-line block ×4, first 2 shown]
	v_add_f64 v[32:33], v[96:97], v[32:33]
	v_add_f64 v[26:27], v[26:27], v[114:115]
	v_fma_f64 v[57:58], v[98:99], s[6:7], v[50:51]
	v_fma_f64 v[50:51], v[98:99], s[0:1], v[50:51]
	;; [unrolled: 1-line block ×12, first 2 shown]
	v_add_f64 v[34:35], v[34:35], v[40:41]
	v_add_f64 v[16:17], v[16:17], v[18:19]
	;; [unrolled: 1-line block ×3, first 2 shown]
	v_fma_f64 v[80:81], v[78:79], s[10:11], v[88:89]
	v_fma_f64 v[88:89], v[82:83], s[10:11], v[92:93]
	;; [unrolled: 1-line block ×4, first 2 shown]
	v_add_f64 v[59:60], v[59:60], v[68:69]
	v_add_f64 v[68:69], v[110:111], v[112:113]
	;; [unrolled: 1-line block ×4, first 2 shown]
	v_fma_f64 v[22:23], v[100:101], s[12:13], v[57:58]
	v_fma_f64 v[36:37], v[100:101], s[2:3], v[50:51]
	;; [unrolled: 1-line block ×12, first 2 shown]
	v_add_f64 v[34:35], v[34:35], v[42:43]
	v_add_f64 v[16:17], v[16:17], v[20:21]
	;; [unrolled: 1-line block ×3, first 2 shown]
	v_mul_f64 v[48:49], v[80:81], s[12:13]
	v_mul_f64 v[74:75], v[88:89], s[6:7]
	;; [unrolled: 1-line block ×8, first 2 shown]
	v_add_f64 v[32:33], v[32:33], v[38:39]
	v_fma_f64 v[38:39], v[59:60], s[10:11], v[22:23]
	v_fma_f64 v[59:60], v[59:60], s[10:11], v[36:37]
	;; [unrolled: 1-line block ×8, first 2 shown]
	v_add_f64 v[14:15], v[34:35], v[18:19]
	v_add_f64 v[26:27], v[34:35], -v[18:19]
	v_fma_f64 v[48:49], v[72:73], s[14:15], v[48:49]
	v_fma_f64 v[74:75], v[30:31], s[10:11], v[74:75]
	;; [unrolled: 1-line block ×8, first 2 shown]
	v_add_f64 v[12:13], v[32:33], v[16:17]
	v_add_f64 v[24:25], v[32:33], -v[16:17]
	v_add_f64 v[16:17], v[38:39], v[48:49]
	v_add_f64 v[20:21], v[36:37], v[74:75]
	;; [unrolled: 1-line block ×8, first 2 shown]
	v_add_f64 v[32:33], v[38:39], -v[48:49]
	v_add_f64 v[36:37], v[36:37], -v[74:75]
	;; [unrolled: 1-line block ×8, first 2 shown]
	ds_store_b128 v53, v[12:15]
	ds_store_b128 v53, v[16:19] offset:208
	ds_store_b128 v53, v[20:23] offset:416
	;; [unrolled: 1-line block ×9, first 2 shown]
	s_waitcnt lgkmcnt(0)
	s_barrier
	buffer_gl0_inv
	s_and_saveexec_b32 s0, vcc_lo
	s_cbranch_execnz .LBB0_16
; %bb.14:
	s_or_b32 exec_lo, exec_lo, s0
	s_and_saveexec_b32 s0, s33
	s_cbranch_execnz .LBB0_17
.LBB0_15:
	s_endpgm
.LBB0_16:
	ds_load_b128 v[12:15], v52
	ds_load_b128 v[16:19], v52 offset:2080
	ds_load_b128 v[20:23], v52 offset:4160
	;; [unrolled: 1-line block ×12, first 2 shown]
	s_or_b32 exec_lo, exec_lo, s0
	s_and_saveexec_b32 s0, s33
	s_cbranch_execz .LBB0_15
.LBB0_17:
	v_mul_u32_u24_e32 v52, 12, v64
	s_mov_b32 s23, 0x3fddbe06
	s_mov_b32 s22, 0x4267c47c
	;; [unrolled: 1-line block ×4, first 2 shown]
	v_dual_mov_b32 v65, 0 :: v_dual_lshlrev_b32 v52, 4, v52
	s_mov_b32 s16, 0x42a4c3d2
	s_mov_b32 s14, 0x24c2f84
	;; [unrolled: 1-line block ×3, first 2 shown]
	s_clause 0xb
	global_load_b128 v[68:71], v52, s[4:5] offset:1936
	global_load_b128 v[56:59], v52, s[4:5] offset:1920
	;; [unrolled: 1-line block ×12, first 2 shown]
	s_mov_b32 s13, 0x3fefc445
	s_mov_b32 s19, 0xbfedeba7
	;; [unrolled: 1-line block ×25, first 2 shown]
	v_lshlrev_b64 v[64:65], 4, v[64:65]
	v_add_co_u32 v66, vcc_lo, s8, v66
	v_add_co_ci_u32_e32 v67, vcc_lo, s9, v67, vcc_lo
	s_waitcnt vmcnt(11) lgkmcnt(7)
	v_mul_f64 v[52:53], v[26:27], v[70:71]
	s_waitcnt vmcnt(10)
	v_mul_f64 v[54:55], v[42:43], v[58:59]
	s_waitcnt vmcnt(9) lgkmcnt(3)
	v_mul_f64 v[108:109], v[50:51], v[62:63]
	v_mul_f64 v[58:59], v[40:41], v[58:59]
	v_mul_f64 v[62:63], v[48:49], v[62:63]
	s_waitcnt vmcnt(8)
	v_mul_f64 v[110:111], v[30:31], v[74:75]
	s_waitcnt vmcnt(5)
	v_mul_f64 v[116:117], v[16:17], v[86:87]
	v_mul_f64 v[86:87], v[18:19], v[86:87]
	;; [unrolled: 1-line block ×4, first 2 shown]
	s_waitcnt vmcnt(4) lgkmcnt(1)
	v_mul_f64 v[118:119], v[6:7], v[90:91]
	v_mul_f64 v[82:83], v[20:21], v[82:83]
	s_waitcnt vmcnt(0)
	v_mul_f64 v[126:127], v[38:39], v[106:107]
	v_mul_f64 v[106:107], v[36:37], v[106:107]
	v_mul_f64 v[112:113], v[2:3], v[78:79]
	s_waitcnt lgkmcnt(0)
	v_mul_f64 v[120:121], v[10:11], v[94:95]
	v_mul_f64 v[78:79], v[0:1], v[78:79]
	v_mul_f64 v[90:91], v[4:5], v[90:91]
	v_mul_f64 v[94:95], v[8:9], v[94:95]
	v_mul_f64 v[122:123], v[46:47], v[98:99]
	v_mul_f64 v[98:99], v[44:45], v[98:99]
	v_mul_f64 v[70:71], v[24:25], v[70:71]
	v_mul_f64 v[124:125], v[34:35], v[102:103]
	v_mul_f64 v[102:103], v[32:33], v[102:103]
	v_fma_f64 v[52:53], v[24:25], v[68:69], v[52:53]
	v_fma_f64 v[54:55], v[40:41], v[56:57], v[54:55]
	;; [unrolled: 1-line block ×3, first 2 shown]
	v_fma_f64 v[48:49], v[42:43], v[56:57], -v[58:59]
	v_fma_f64 v[42:43], v[50:51], v[60:61], -v[62:63]
	v_fma_f64 v[50:51], v[28:29], v[72:73], v[110:111]
	v_fma_f64 v[62:63], v[18:19], v[84:85], -v[116:117]
	v_fma_f64 v[60:61], v[16:17], v[84:85], v[86:87]
	;; [unrolled: 2-line block ×3, first 2 shown]
	v_fma_f64 v[4:5], v[4:5], v[88:89], v[118:119]
	v_fma_f64 v[58:59], v[22:23], v[80:81], -v[82:83]
	v_fma_f64 v[18:19], v[36:37], v[104:105], v[126:127]
	v_fma_f64 v[20:21], v[38:39], v[104:105], -v[106:107]
	v_fma_f64 v[24:25], v[0:1], v[76:77], v[112:113]
	v_fma_f64 v[0:1], v[8:9], v[92:93], v[120:121]
	v_fma_f64 v[8:9], v[2:3], v[76:77], -v[78:79]
	v_fma_f64 v[6:7], v[6:7], v[88:89], -v[90:91]
	;; [unrolled: 1-line block ×3, first 2 shown]
	v_fma_f64 v[10:11], v[44:45], v[96:97], v[122:123]
	v_fma_f64 v[16:17], v[46:47], v[96:97], -v[98:99]
	v_fma_f64 v[28:29], v[26:27], v[68:69], -v[70:71]
	v_fma_f64 v[22:23], v[32:33], v[100:101], v[124:125]
	v_fma_f64 v[26:27], v[34:35], v[100:101], -v[102:103]
	v_add_f64 v[32:33], v[54:55], -v[40:41]
	v_add_f64 v[90:91], v[54:55], v[40:41]
	v_add_f64 v[70:71], v[48:49], -v[42:43]
	v_add_f64 v[82:83], v[48:49], v[42:43]
	v_add_f64 v[38:39], v[14:15], v[62:63]
	;; [unrolled: 1-line block ×3, first 2 shown]
	v_add_f64 v[46:47], v[56:57], -v[4:5]
	v_add_f64 v[94:95], v[56:57], v[4:5]
	v_add_f64 v[44:45], v[50:51], -v[24:25]
	v_add_f64 v[92:93], v[50:51], v[24:25]
	;; [unrolled: 2-line block ×3, first 2 shown]
	v_add_f64 v[76:77], v[58:59], -v[6:7]
	v_add_f64 v[34:35], v[52:53], -v[10:11]
	;; [unrolled: 1-line block ×7, first 2 shown]
	v_add_f64 v[62:63], v[62:63], v[2:3]
	v_add_f64 v[60:61], v[60:61], v[0:1]
	;; [unrolled: 1-line block ×7, first 2 shown]
	v_mul_f64 v[148:149], v[32:33], s[22:23]
	v_mul_f64 v[104:105], v[32:33], s[16:17]
	;; [unrolled: 1-line block ×4, first 2 shown]
	v_add_f64 v[38:39], v[58:59], v[38:39]
	v_add_f64 v[56:57], v[56:57], v[74:75]
	v_mul_f64 v[110:111], v[70:71], s[16:17]
	v_mul_f64 v[118:119], v[32:33], s[28:29]
	;; [unrolled: 1-line block ×16, first 2 shown]
	s_mov_b32 s23, 0xbfddbe06
	v_mul_f64 v[114:115], v[78:79], s[20:21]
	v_mul_f64 v[124:125], v[68:69], s[14:15]
	;; [unrolled: 1-line block ×19, first 2 shown]
	v_add_f64 v[30:31], v[30:31], v[38:39]
	v_add_f64 v[50:51], v[50:51], v[56:57]
	v_mul_f64 v[168:169], v[46:47], s[18:19]
	v_mul_f64 v[38:39], v[70:71], s[30:31]
	;; [unrolled: 1-line block ×10, first 2 shown]
	v_fma_f64 v[208:209], v[90:91], s[24:25], -v[128:129]
	v_mul_f64 v[178:179], v[76:77], s[30:31]
	v_fma_f64 v[192:193], v[62:63], s[24:25], v[108:109]
	v_fma_f64 v[108:109], v[62:63], s[24:25], -v[108:109]
	v_mul_f64 v[180:181], v[76:77], s[20:21]
	v_mul_f64 v[76:77], v[76:77], s[26:27]
	v_fma_f64 v[186:187], v[82:83], s[4:5], v[104:105]
	v_fma_f64 v[198:199], v[60:61], s[24:25], -v[114:115]
	v_fma_f64 v[114:115], v[60:61], s[24:25], v[114:115]
	v_fma_f64 v[206:207], v[62:63], s[0:1], v[124:125]
	v_fma_f64 v[124:125], v[62:63], s[0:1], -v[124:125]
	v_fma_f64 v[214:215], v[62:63], s[10:11], v[140:141]
	v_fma_f64 v[140:141], v[62:63], s[10:11], -v[140:141]
	v_fma_f64 v[220:221], v[62:63], s[2:3], v[154:155]
	v_fma_f64 v[154:155], v[62:63], s[2:3], -v[154:155]
	v_fma_f64 v[224:225], v[62:63], s[4:5], v[170:171]
	v_fma_f64 v[226:227], v[60:61], s[4:5], -v[176:177]
	v_fma_f64 v[170:171], v[62:63], s[4:5], -v[170:171]
	v_fma_f64 v[176:177], v[60:61], s[4:5], v[176:177]
	v_fma_f64 v[246:247], v[62:63], s[6:7], v[68:69]
	v_fma_f64 v[62:63], v[62:63], s[6:7], -v[68:69]
	v_fma_f64 v[218:219], v[60:61], s[10:11], -v[146:147]
	;; [unrolled: 1-line block ×3, first 2 shown]
	v_fma_f64 v[160:161], v[60:61], s[2:3], v[160:161]
	v_fma_f64 v[146:147], v[60:61], s[10:11], v[146:147]
	v_fma_f64 v[248:249], v[60:61], s[6:7], -v[78:79]
	v_add_f64 v[30:31], v[48:49], v[30:31]
	v_add_f64 v[50:51], v[54:55], v[50:51]
	v_fma_f64 v[54:55], v[90:91], s[24:25], v[128:129]
	v_fma_f64 v[128:129], v[60:61], s[0:1], v[132:133]
	v_fma_f64 v[48:49], v[60:61], s[0:1], -v[132:133]
	v_fma_f64 v[60:61], v[60:61], s[6:7], v[78:79]
	v_fma_f64 v[188:189], v[84:85], s[0:1], v[58:59]
	;; [unrolled: 1-line block ×3, first 2 shown]
	v_fma_f64 v[194:195], v[90:91], s[4:5], -v[110:111]
	v_fma_f64 v[196:197], v[92:93], s[0:1], -v[112:113]
	;; [unrolled: 1-line block ×5, first 2 shown]
	v_fma_f64 v[110:111], v[90:91], s[4:5], v[110:111]
	v_fma_f64 v[112:113], v[92:93], s[0:1], v[112:113]
	;; [unrolled: 1-line block ×5, first 2 shown]
	v_fma_f64 v[118:119], v[82:83], s[24:25], -v[118:119]
	v_fma_f64 v[120:121], v[84:85], s[4:5], -v[120:121]
	;; [unrolled: 1-line block ×3, first 2 shown]
	v_fma_f64 v[132:133], v[82:83], s[2:3], v[134:135]
	v_fma_f64 v[210:211], v[84:85], s[6:7], v[136:137]
	;; [unrolled: 1-line block ×3, first 2 shown]
	v_fma_f64 v[216:217], v[90:91], s[2:3], -v[142:143]
	v_fma_f64 v[134:135], v[82:83], s[2:3], -v[134:135]
	;; [unrolled: 1-line block ×4, first 2 shown]
	v_fma_f64 v[142:143], v[90:91], s[2:3], v[142:143]
	v_fma_f64 v[228:229], v[82:83], s[6:7], v[148:149]
	;; [unrolled: 1-line block ×4, first 2 shown]
	v_fma_f64 v[234:235], v[90:91], s[6:7], -v[156:157]
	v_fma_f64 v[148:149], v[82:83], s[6:7], -v[148:149]
	;; [unrolled: 1-line block ×4, first 2 shown]
	v_fma_f64 v[156:157], v[90:91], s[6:7], v[156:157]
	v_fma_f64 v[236:237], v[82:83], s[0:1], v[164:165]
	v_add_f64 v[28:29], v[28:29], v[30:31]
	v_add_f64 v[50:51], v[52:53], v[50:51]
	v_fma_f64 v[30:31], v[84:85], s[24:25], v[166:167]
	v_fma_f64 v[238:239], v[86:87], s[10:11], v[168:169]
	v_fma_f64 v[240:241], v[90:91], s[0:1], -v[38:39]
	v_fma_f64 v[164:165], v[82:83], s[0:1], -v[164:165]
	;; [unrolled: 1-line block ×4, first 2 shown]
	v_fma_f64 v[38:39], v[90:91], s[0:1], v[38:39]
	v_fma_f64 v[168:169], v[82:83], s[10:11], v[32:33]
	v_fma_f64 v[32:33], v[82:83], s[10:11], -v[32:33]
	v_fma_f64 v[82:83], v[84:85], s[2:3], v[44:45]
	v_fma_f64 v[44:45], v[84:85], s[2:3], -v[44:45]
	;; [unrolled: 2-line block ×3, first 2 shown]
	v_fma_f64 v[86:87], v[90:91], s[10:11], -v[56:57]
	v_fma_f64 v[56:57], v[90:91], s[10:11], v[56:57]
	v_fma_f64 v[90:91], v[92:93], s[4:5], -v[130:131]
	v_fma_f64 v[130:131], v[92:93], s[4:5], v[130:131]
	;; [unrolled: 2-line block ×6, first 2 shown]
	v_fma_f64 v[92:93], v[94:95], s[6:7], -v[74:75]
	v_add_f64 v[192:193], v[14:15], v[192:193]
	v_fma_f64 v[74:75], v[94:95], s[6:7], v[74:75]
	v_add_f64 v[198:199], v[12:13], v[198:199]
	v_fma_f64 v[250:251], v[94:95], s[2:3], -v[72:73]
	v_fma_f64 v[72:73], v[94:95], s[2:3], v[72:73]
	v_add_f64 v[108:109], v[14:15], v[108:109]
	v_add_f64 v[114:115], v[12:13], v[114:115]
	;; [unrolled: 1-line block ×16, first 2 shown]
	v_fma_f64 v[62:63], v[94:95], s[10:11], v[182:183]
	v_fma_f64 v[28:29], v[94:95], s[0:1], -v[178:179]
	v_add_f64 v[48:49], v[12:13], v[48:49]
	v_fma_f64 v[50:51], v[94:95], s[24:25], -v[180:181]
	v_fma_f64 v[180:181], v[94:95], s[24:25], v[180:181]
	v_add_f64 v[218:219], v[12:13], v[218:219]
	v_add_f64 v[160:161], v[12:13], v[160:161]
	v_fma_f64 v[178:179], v[94:95], s[0:1], v[178:179]
	v_add_f64 v[146:147], v[12:13], v[146:147]
	v_add_f64 v[222:223], v[12:13], v[222:223]
	;; [unrolled: 1-line block ×5, first 2 shown]
	v_fma_f64 v[60:61], v[94:95], s[10:11], -v[182:183]
	v_fma_f64 v[182:183], v[94:95], s[4:5], -v[76:77]
	v_fma_f64 v[76:77], v[94:95], s[4:5], v[76:77]
	v_mul_f64 v[94:95], v[34:35], s[18:19]
	v_add_f64 v[190:191], v[190:191], v[192:193]
	v_mul_f64 v[184:185], v[80:81], s[12:13]
	v_add_f64 v[92:93], v[92:93], v[198:199]
	v_mul_f64 v[198:199], v[36:37], s[18:19]
	v_mul_f64 v[192:193], v[88:89], s[12:13]
	v_add_f64 v[106:107], v[106:107], v[108:109]
	v_add_f64 v[74:75], v[74:75], v[114:115]
	;; [unrolled: 1-line block ×13, first 2 shown]
	v_mul_f64 v[22:23], v[34:35], s[26:27]
	v_add_f64 v[84:85], v[84:85], v[246:247]
	v_add_f64 v[14:15], v[46:47], v[14:15]
	;; [unrolled: 1-line block ×3, first 2 shown]
	v_mul_f64 v[140:141], v[34:35], s[12:13]
	v_add_f64 v[48:49], v[250:251], v[48:49]
	v_mul_f64 v[128:129], v[36:37], s[28:29]
	v_mul_f64 v[250:251], v[34:35], s[28:29]
	v_add_f64 v[28:29], v[28:29], v[218:219]
	v_add_f64 v[160:161], v[180:181], v[160:161]
	v_mul_f64 v[218:219], v[36:37], s[26:27]
	v_add_f64 v[146:147], v[178:179], v[146:147]
	v_add_f64 v[50:51], v[50:51], v[222:223]
	v_mul_f64 v[178:179], v[36:37], s[12:13]
	v_mul_f64 v[36:37], v[36:37], s[14:15]
	;; [unrolled: 1-line block ×3, first 2 shown]
	v_add_f64 v[60:61], v[60:61], v[226:227]
	v_add_f64 v[182:183], v[182:183], v[248:249]
	;; [unrolled: 1-line block ×3, first 2 shown]
	v_mul_f64 v[34:35], v[34:35], s[14:15]
	v_add_f64 v[188:189], v[188:189], v[190:191]
	v_mul_f64 v[26:27], v[80:81], s[14:15]
	v_add_f64 v[92:93], v[196:197], v[92:93]
	v_fma_f64 v[180:181], v[102:103], s[10:11], -v[198:199]
	v_mul_f64 v[108:109], v[80:81], s[18:19]
	v_add_f64 v[58:59], v[58:59], v[106:107]
	v_add_f64 v[74:75], v[112:113], v[74:75]
	;; [unrolled: 1-line block ×3, first 2 shown]
	v_mul_f64 v[124:125], v[88:89], s[16:17]
	v_add_f64 v[72:73], v[130:131], v[72:73]
	v_add_f64 v[16:17], v[16:17], v[20:21]
	;; [unrolled: 1-line block ×4, first 2 shown]
	v_mul_f64 v[214:215], v[88:89], s[14:15]
	v_fma_f64 v[226:227], v[102:103], s[6:7], -v[126:127]
	v_add_f64 v[130:131], v[150:151], v[152:153]
	v_add_f64 v[30:31], v[30:31], v[224:225]
	;; [unrolled: 1-line block ×3, first 2 shown]
	v_fma_f64 v[20:21], v[98:99], s[6:7], -v[116:117]
	v_fma_f64 v[76:77], v[102:103], s[6:7], v[126:127]
	v_add_f64 v[14:15], v[44:45], v[14:15]
	v_add_f64 v[62:63], v[78:79], v[62:63]
	v_mul_f64 v[206:207], v[80:81], s[16:17]
	v_add_f64 v[48:49], v[90:91], v[48:49]
	v_add_f64 v[90:91], v[120:121], v[122:123]
	;; [unrolled: 1-line block ×8, first 2 shown]
	v_fma_f64 v[138:139], v[98:99], s[2:3], -v[140:141]
	v_fma_f64 v[126:127], v[102:103], s[24:25], -v[128:129]
	v_fma_f64 v[44:45], v[102:103], s[4:5], v[218:219]
	v_add_f64 v[60:61], v[68:69], v[60:61]
	v_add_f64 v[68:69], v[82:83], v[84:85]
	;; [unrolled: 1-line block ×4, first 2 shown]
	v_fma_f64 v[70:71], v[98:99], s[2:3], v[140:141]
	v_fma_f64 v[140:141], v[102:103], s[2:3], v[178:179]
	v_add_f64 v[92:93], v[194:195], v[92:93]
	v_fma_f64 v[222:223], v[98:99], s[10:11], v[94:95]
	v_fma_f64 v[94:95], v[98:99], s[10:11], -v[94:95]
	v_fma_f64 v[198:199], v[102:103], s[10:11], v[198:199]
	v_add_f64 v[74:75], v[110:111], v[74:75]
	v_fma_f64 v[246:247], v[98:99], s[24:25], -v[250:251]
	v_fma_f64 v[128:129], v[102:103], s[24:25], v[128:129]
	v_fma_f64 v[84:85], v[102:103], s[2:3], -v[178:179]
	v_add_f64 v[16:17], v[42:43], v[16:17]
	v_add_f64 v[10:11], v[40:41], v[10:11]
	v_fma_f64 v[40:41], v[98:99], s[4:5], v[22:23]
	v_fma_f64 v[22:23], v[98:99], s[4:5], -v[22:23]
	v_fma_f64 v[42:43], v[102:103], s[4:5], -v[218:219]
	v_add_f64 v[110:111], v[148:149], v[130:131]
	v_fma_f64 v[146:147], v[102:103], s[0:1], -v[36:37]
	v_add_f64 v[52:53], v[164:165], v[52:53]
	v_fma_f64 v[36:37], v[102:103], s[0:1], v[36:37]
	v_add_f64 v[58:59], v[104:105], v[58:59]
	v_add_f64 v[102:103], v[200:201], v[106:107]
	;; [unrolled: 1-line block ×4, first 2 shown]
	v_fma_f64 v[176:177], v[98:99], s[6:7], v[116:117]
	v_add_f64 v[90:91], v[118:119], v[90:91]
	v_add_f64 v[104:105], v[134:135], v[120:121]
	;; [unrolled: 1-line block ×4, first 2 shown]
	v_fma_f64 v[238:239], v[100:101], s[10:11], -v[114:115]
	v_add_f64 v[106:107], v[142:143], v[122:123]
	v_fma_f64 v[46:47], v[100:101], s[10:11], v[114:115]
	v_fma_f64 v[114:115], v[98:99], s[24:25], v[250:251]
	;; [unrolled: 1-line block ×3, first 2 shown]
	v_fma_f64 v[34:35], v[98:99], s[0:1], -v[34:35]
	v_add_f64 v[98:99], v[186:187], v[188:189]
	v_add_f64 v[48:49], v[208:209], v[48:49]
	;; [unrolled: 1-line block ×7, first 2 shown]
	v_mul_f64 v[80:81], v[80:81], s[20:21]
	v_mul_f64 v[88:89], v[88:89], s[20:21]
	v_add_f64 v[14:15], v[32:33], v[14:15]
	v_add_f64 v[12:13], v[56:57], v[12:13]
	;; [unrolled: 1-line block ×4, first 2 shown]
	v_fma_f64 v[32:33], v[96:97], s[0:1], -v[26:27]
	v_add_f64 v[8:9], v[8:9], v[16:17]
	v_add_f64 v[10:11], v[24:25], v[10:11]
	v_fma_f64 v[122:123], v[96:97], s[6:7], -v[162:163]
	v_fma_f64 v[130:131], v[100:101], s[6:7], v[172:173]
	v_add_f64 v[24:25], v[180:181], v[92:93]
	v_add_f64 v[92:93], v[22:23], v[110:111]
	v_fma_f64 v[18:19], v[96:97], s[10:11], -v[108:109]
	v_add_f64 v[52:53], v[138:139], v[52:53]
	v_fma_f64 v[116:117], v[100:101], s[4:5], -v[124:125]
	v_fma_f64 v[112:113], v[100:101], s[0:1], v[214:215]
	v_fma_f64 v[232:233], v[96:97], s[2:3], v[184:185]
	v_add_f64 v[38:39], v[140:141], v[38:39]
	v_fma_f64 v[154:155], v[100:101], s[2:3], -v[192:193]
	v_fma_f64 v[184:185], v[96:97], s[2:3], -v[184:185]
	v_add_f64 v[20:21], v[20:21], v[90:91]
	v_fma_f64 v[170:171], v[96:97], s[10:11], v[108:109]
	v_add_f64 v[28:29], v[126:127], v[28:29]
	v_add_f64 v[44:45], v[44:45], v[62:63]
	v_fma_f64 v[108:109], v[96:97], s[4:5], v[206:207]
	v_fma_f64 v[206:207], v[96:97], s[4:5], -v[206:207]
	v_fma_f64 v[124:125], v[100:101], s[4:5], v[124:125]
	v_fma_f64 v[56:57], v[96:97], s[0:1], v[26:27]
	v_add_f64 v[26:27], v[94:95], v[58:59]
	v_add_f64 v[54:55], v[76:77], v[54:55]
	v_add_f64 v[76:77], v[246:247], v[104:105]
	v_add_f64 v[90:91], v[128:129], v[106:107]
	v_add_f64 v[16:17], v[222:223], v[98:99]
	v_fma_f64 v[192:193], v[100:101], s[2:3], v[192:193]
	v_add_f64 v[58:59], v[198:199], v[74:75]
	v_add_f64 v[74:75], v[176:177], v[102:103]
	;; [unrolled: 1-line block ×4, first 2 shown]
	v_fma_f64 v[86:87], v[100:101], s[0:1], -v[214:215]
	v_add_f64 v[40:41], v[40:41], v[78:79]
	v_add_f64 v[42:43], v[42:43], v[50:51]
	v_fma_f64 v[118:119], v[96:97], s[6:7], v[162:163]
	v_fma_f64 v[120:121], v[100:101], s[6:7], -v[172:173]
	v_add_f64 v[50:51], v[70:71], v[30:31]
	v_add_f64 v[60:61], v[84:85], v[60:61]
	v_fma_f64 v[132:133], v[96:97], s[24:25], v[80:81]
	v_fma_f64 v[134:135], v[100:101], s[24:25], -v[88:89]
	v_fma_f64 v[80:81], v[96:97], s[24:25], -v[80:81]
	v_fma_f64 v[88:89], v[100:101], s[24:25], v[88:89]
	v_add_f64 v[70:71], v[34:35], v[14:15]
	v_add_f64 v[78:79], v[36:37], v[12:13]
	v_add_f64 v[62:63], v[144:145], v[68:69]
	v_add_f64 v[68:69], v[146:147], v[82:83]
	v_add_f64 v[82:83], v[6:7], v[8:9]
	v_add_f64 v[84:85], v[4:5], v[10:11]
	v_add_f64 v[30:31], v[32:33], v[92:93]
	v_add_f64 v[34:35], v[122:123], v[52:53]
	v_add_f64 v[32:33], v[130:131], v[38:39]
	v_add_f64 v[18:19], v[18:19], v[20:21]
	v_add_f64 v[4:5], v[154:155], v[24:25]
	v_add_f64 v[20:21], v[116:117], v[28:29]
	v_add_f64 v[28:29], v[112:113], v[44:45]
	v_add_co_u32 v52, vcc_lo, v66, v64
	v_add_co_ci_u32_e32 v53, vcc_lo, v67, v65, vcc_lo
	v_add_f64 v[10:11], v[184:185], v[26:27]
	v_add_f64 v[26:27], v[206:207], v[76:77]
	;; [unrolled: 1-line block ×9, first 2 shown]
	v_add_co_u32 v54, vcc_lo, 0x1000, v52
	v_add_f64 v[38:39], v[56:57], v[40:41]
	v_add_f64 v[36:37], v[86:87], v[42:43]
	v_add_co_ci_u32_e32 v55, vcc_lo, 0, v53, vcc_lo
	v_add_f64 v[42:43], v[118:119], v[50:51]
	v_add_f64 v[40:41], v[120:121], v[60:61]
	v_add_co_u32 v56, vcc_lo, 0x2000, v52
	v_add_co_ci_u32_e32 v57, vcc_lo, 0, v53, vcc_lo
	v_add_f64 v[50:51], v[80:81], v[70:71]
	v_add_f64 v[48:49], v[88:89], v[78:79]
	;; [unrolled: 1-line block ×6, first 2 shown]
	v_add_co_u32 v58, vcc_lo, 0x3000, v52
	v_add_co_ci_u32_e32 v59, vcc_lo, 0, v53, vcc_lo
	v_add_co_u32 v60, vcc_lo, 0x4000, v52
	v_add_co_ci_u32_e32 v61, vcc_lo, 0, v53, vcc_lo
	;; [unrolled: 2-line block ×4, first 2 shown]
	s_clause 0xc
	global_store_b128 v[54:55], v[32:35], off offset:64
	global_store_b128 v[54:55], v[28:31], off offset:2144
	;; [unrolled: 1-line block ×11, first 2 shown]
	global_store_b128 v[52:53], v[0:3], off
	global_store_b128 v[64:65], v[44:47], off offset:384
	s_nop 0
	s_sendmsg sendmsg(MSG_DEALLOC_VGPRS)
	s_endpgm
	.section	.rodata,"a",@progbits
	.p2align	6, 0x0
	.amdhsa_kernel fft_rtc_back_len1690_factors_13_10_13_wgs_169_tpt_169_dp_ip_CI_unitstride_sbrr_dirReg
		.amdhsa_group_segment_fixed_size 0
		.amdhsa_private_segment_fixed_size 0
		.amdhsa_kernarg_size 88
		.amdhsa_user_sgpr_count 15
		.amdhsa_user_sgpr_dispatch_ptr 0
		.amdhsa_user_sgpr_queue_ptr 0
		.amdhsa_user_sgpr_kernarg_segment_ptr 1
		.amdhsa_user_sgpr_dispatch_id 0
		.amdhsa_user_sgpr_private_segment_size 0
		.amdhsa_wavefront_size32 1
		.amdhsa_uses_dynamic_stack 0
		.amdhsa_enable_private_segment 0
		.amdhsa_system_sgpr_workgroup_id_x 1
		.amdhsa_system_sgpr_workgroup_id_y 0
		.amdhsa_system_sgpr_workgroup_id_z 0
		.amdhsa_system_sgpr_workgroup_info 0
		.amdhsa_system_vgpr_workitem_id 0
		.amdhsa_next_free_vgpr 254
		.amdhsa_next_free_sgpr 43
		.amdhsa_reserve_vcc 1
		.amdhsa_float_round_mode_32 0
		.amdhsa_float_round_mode_16_64 0
		.amdhsa_float_denorm_mode_32 3
		.amdhsa_float_denorm_mode_16_64 3
		.amdhsa_dx10_clamp 1
		.amdhsa_ieee_mode 1
		.amdhsa_fp16_overflow 0
		.amdhsa_workgroup_processor_mode 1
		.amdhsa_memory_ordered 1
		.amdhsa_forward_progress 0
		.amdhsa_shared_vgpr_count 0
		.amdhsa_exception_fp_ieee_invalid_op 0
		.amdhsa_exception_fp_denorm_src 0
		.amdhsa_exception_fp_ieee_div_zero 0
		.amdhsa_exception_fp_ieee_overflow 0
		.amdhsa_exception_fp_ieee_underflow 0
		.amdhsa_exception_fp_ieee_inexact 0
		.amdhsa_exception_int_div_zero 0
	.end_amdhsa_kernel
	.text
.Lfunc_end0:
	.size	fft_rtc_back_len1690_factors_13_10_13_wgs_169_tpt_169_dp_ip_CI_unitstride_sbrr_dirReg, .Lfunc_end0-fft_rtc_back_len1690_factors_13_10_13_wgs_169_tpt_169_dp_ip_CI_unitstride_sbrr_dirReg
                                        ; -- End function
	.section	.AMDGPU.csdata,"",@progbits
; Kernel info:
; codeLenInByte = 12044
; NumSgprs: 45
; NumVgprs: 254
; ScratchSize: 0
; MemoryBound: 1
; FloatMode: 240
; IeeeMode: 1
; LDSByteSize: 0 bytes/workgroup (compile time only)
; SGPRBlocks: 5
; VGPRBlocks: 31
; NumSGPRsForWavesPerEU: 45
; NumVGPRsForWavesPerEU: 254
; Occupancy: 5
; WaveLimiterHint : 1
; COMPUTE_PGM_RSRC2:SCRATCH_EN: 0
; COMPUTE_PGM_RSRC2:USER_SGPR: 15
; COMPUTE_PGM_RSRC2:TRAP_HANDLER: 0
; COMPUTE_PGM_RSRC2:TGID_X_EN: 1
; COMPUTE_PGM_RSRC2:TGID_Y_EN: 0
; COMPUTE_PGM_RSRC2:TGID_Z_EN: 0
; COMPUTE_PGM_RSRC2:TIDIG_COMP_CNT: 0
	.text
	.p2alignl 7, 3214868480
	.fill 96, 4, 3214868480
	.type	__hip_cuid_debe676ab81dee54,@object ; @__hip_cuid_debe676ab81dee54
	.section	.bss,"aw",@nobits
	.globl	__hip_cuid_debe676ab81dee54
__hip_cuid_debe676ab81dee54:
	.byte	0                               ; 0x0
	.size	__hip_cuid_debe676ab81dee54, 1

	.ident	"AMD clang version 19.0.0git (https://github.com/RadeonOpenCompute/llvm-project roc-6.4.0 25133 c7fe45cf4b819c5991fe208aaa96edf142730f1d)"
	.section	".note.GNU-stack","",@progbits
	.addrsig
	.addrsig_sym __hip_cuid_debe676ab81dee54
	.amdgpu_metadata
---
amdhsa.kernels:
  - .args:
      - .actual_access:  read_only
        .address_space:  global
        .offset:         0
        .size:           8
        .value_kind:     global_buffer
      - .offset:         8
        .size:           8
        .value_kind:     by_value
      - .actual_access:  read_only
        .address_space:  global
        .offset:         16
        .size:           8
        .value_kind:     global_buffer
      - .actual_access:  read_only
        .address_space:  global
        .offset:         24
        .size:           8
        .value_kind:     global_buffer
      - .offset:         32
        .size:           8
        .value_kind:     by_value
      - .actual_access:  read_only
        .address_space:  global
        .offset:         40
        .size:           8
        .value_kind:     global_buffer
      - .actual_access:  read_only
        .address_space:  global
        .offset:         48
        .size:           8
        .value_kind:     global_buffer
      - .offset:         56
        .size:           4
        .value_kind:     by_value
      - .actual_access:  read_only
        .address_space:  global
        .offset:         64
        .size:           8
        .value_kind:     global_buffer
      - .actual_access:  read_only
        .address_space:  global
        .offset:         72
        .size:           8
        .value_kind:     global_buffer
      - .address_space:  global
        .offset:         80
        .size:           8
        .value_kind:     global_buffer
    .group_segment_fixed_size: 0
    .kernarg_segment_align: 8
    .kernarg_segment_size: 88
    .language:       OpenCL C
    .language_version:
      - 2
      - 0
    .max_flat_workgroup_size: 169
    .name:           fft_rtc_back_len1690_factors_13_10_13_wgs_169_tpt_169_dp_ip_CI_unitstride_sbrr_dirReg
    .private_segment_fixed_size: 0
    .sgpr_count:     45
    .sgpr_spill_count: 0
    .symbol:         fft_rtc_back_len1690_factors_13_10_13_wgs_169_tpt_169_dp_ip_CI_unitstride_sbrr_dirReg.kd
    .uniform_work_group_size: 1
    .uses_dynamic_stack: false
    .vgpr_count:     254
    .vgpr_spill_count: 0
    .wavefront_size: 32
    .workgroup_processor_mode: 1
amdhsa.target:   amdgcn-amd-amdhsa--gfx1100
amdhsa.version:
  - 1
  - 2
...

	.end_amdgpu_metadata
